;; amdgpu-corpus repo=zjin-lcf/HeCBench kind=compiled arch=gfx1100 opt=O3
	.text
	.amdgcn_target "amdgcn-amd-amdhsa--gfx1100"
	.amdhsa_code_object_version 6
	.protected	_Z6rotateif15HIP_vector_typeIfLj3EEPS0_ ; -- Begin function _Z6rotateif15HIP_vector_typeIfLj3EEPS0_
	.globl	_Z6rotateif15HIP_vector_typeIfLj3EEPS0_
	.p2align	8
	.type	_Z6rotateif15HIP_vector_typeIfLj3EEPS0_,@function
_Z6rotateif15HIP_vector_typeIfLj3EEPS0_: ; @_Z6rotateif15HIP_vector_typeIfLj3EEPS0_
; %bb.0:
	s_clause 0x1
	s_load_b32 s2, s[0:1], 0x2c
	s_load_b128 s[4:7], s[0:1], 0x0
	s_waitcnt lgkmcnt(0)
	s_and_b32 s2, s2, 0xffff
	s_delay_alu instid0(SALU_CYCLE_1) | instskip(SKIP_1) | instid1(VALU_DEP_1)
	v_mad_u64_u32 v[1:2], null, s15, s2, v[0:1]
	s_mov_b32 s2, exec_lo
	v_cmpx_gt_i32_e64 s4, v1
	s_cbranch_execz .LBB0_6
; %bb.1:
	s_load_b32 s2, s[0:1], 0x10
	v_cmp_ngt_f32_e64 s3, 0x48000000, |s5|
	s_delay_alu instid0(VALU_DEP_1)
	s_and_b32 vcc_lo, exec_lo, s3
	s_and_b32 s3, s5, 0x7fffffff
	s_cbranch_vccz .LBB0_3
; %bb.2:
	s_and_b32 s4, s3, 0x7fffff
	s_lshr_b32 s8, s3, 23
	s_bitset1_b32 s4, 23
	s_addk_i32 s8, 0xff88
	s_mul_hi_u32 s9, s4, 0xfe5163ab
	s_mul_i32 s10, s4, 0x3c439041
	s_mul_hi_u32 s11, s4, 0x3c439041
	s_add_u32 s9, s9, s10
	s_addc_u32 s10, 0, s11
	s_mul_i32 s11, s4, 0xdb629599
	s_mul_hi_u32 s12, s4, 0xdb629599
	s_add_u32 s10, s10, s11
	s_addc_u32 s11, 0, s12
	;; [unrolled: 4-line block ×5, first 2 shown]
	s_cmp_gt_u32 s8, 63
	s_mul_i32 s15, s4, 0xfe5163ab
	s_mul_hi_u32 s16, s4, 0xa2f9836e
	s_mul_i32 s4, s4, 0xa2f9836e
	s_cselect_b32 s17, s10, s12
	s_cselect_b32 s9, s9, s11
	;; [unrolled: 1-line block ×3, first 2 shown]
	s_add_u32 s4, s14, s4
	s_addc_u32 s14, 0, s16
	s_cmp_gt_u32 s8, 63
	s_cselect_b32 s15, 0xffffffc0, 0
	s_cselect_b32 s11, s11, s13
	;; [unrolled: 1-line block ×4, first 2 shown]
	s_add_i32 s15, s15, s8
	s_delay_alu instid0(SALU_CYCLE_1)
	s_cmp_gt_u32 s15, 31
	s_cselect_b32 s8, 0xffffffe0, 0
	s_cselect_b32 s13, s11, s4
	;; [unrolled: 1-line block ×6, first 2 shown]
	s_add_i32 s8, s8, s15
	s_delay_alu instid0(SALU_CYCLE_1)
	s_cmp_gt_u32 s8, 31
	s_cselect_b32 s10, 0xffffffe0, 0
	s_cselect_b32 s4, s13, s4
	;; [unrolled: 1-line block ×5, first 2 shown]
	s_add_i32 s10, s10, s8
	s_delay_alu instid0(SALU_CYCLE_1) | instskip(SKIP_3) | instid1(VALU_DEP_1)
	s_sub_i32 s8, 32, s10
	s_cmp_eq_u32 s10, 0
	v_mov_b32_e32 v0, s8
	s_cselect_b32 s10, -1, 0
	v_alignbit_b32 v2, s4, s13, v0
	v_alignbit_b32 v3, s13, s11, v0
	s_delay_alu instid0(VALU_DEP_2) | instskip(NEXT) | instid1(VALU_DEP_2)
	v_readfirstlane_b32 s8, v2
	v_cndmask_b32_e64 v2, v3, s13, s10
	s_delay_alu instid0(VALU_DEP_2)
	s_cselect_b32 s4, s4, s8
	s_delay_alu instid0(VALU_DEP_1) | instid1(SALU_CYCLE_1)
	v_alignbit_b32 v3, s4, v2, 30
	s_bfe_u32 s8, s4, 0x1001d
	s_delay_alu instid0(SALU_CYCLE_1)
	s_sub_i32 s12, 0, s8
	s_delay_alu instid0(VALU_DEP_1) | instid1(SALU_CYCLE_1)
	v_xor_b32_e32 v4, s12, v3
	v_cmp_ne_u32_e32 vcc_lo, s12, v3
	s_delay_alu instid0(VALU_DEP_2) | instskip(NEXT) | instid1(VALU_DEP_1)
	v_clz_i32_u32_e32 v5, v4
	v_add_nc_u32_e32 v5, 1, v5
	v_alignbit_b32 v0, s11, s9, v0
	s_delay_alu instid0(VALU_DEP_2) | instskip(NEXT) | instid1(VALU_DEP_2)
	v_cndmask_b32_e32 v3, 33, v5, vcc_lo
	v_cndmask_b32_e64 v0, v0, s11, s10
	s_delay_alu instid0(VALU_DEP_2) | instskip(NEXT) | instid1(VALU_DEP_2)
	v_sub_nc_u32_e32 v5, 32, v3
	v_alignbit_b32 v2, v2, v0, 30
	v_alignbit_b32 v0, v0, s9, 30
	s_lshr_b32 s9, s4, 29
	s_delay_alu instid0(SALU_CYCLE_1) | instskip(NEXT) | instid1(VALU_DEP_2)
	s_lshl_b32 s9, s9, 31
	v_xor_b32_e32 v2, s12, v2
	s_delay_alu instid0(VALU_DEP_2) | instskip(NEXT) | instid1(VALU_DEP_2)
	v_xor_b32_e32 v0, s12, v0
	v_alignbit_b32 v4, v4, v2, v5
	s_delay_alu instid0(VALU_DEP_2) | instskip(NEXT) | instid1(VALU_DEP_1)
	v_alignbit_b32 v0, v2, v0, v5
	v_alignbit_b32 v2, v4, v0, 9
	;; [unrolled: 1-line block ×3, first 2 shown]
	s_delay_alu instid0(VALU_DEP_2) | instskip(NEXT) | instid1(VALU_DEP_2)
	v_clz_i32_u32_e32 v5, v2
	v_or_b32_e32 v4, s9, v4
	s_or_b32 s9, s9, 0x33800000
	s_delay_alu instid0(VALU_DEP_2) | instskip(NEXT) | instid1(VALU_DEP_2)
	v_min_u32_e32 v5, 32, v5
	v_xor_b32_e32 v4, 1.0, v4
	s_delay_alu instid0(VALU_DEP_2) | instskip(SKIP_1) | instid1(VALU_DEP_2)
	v_sub_nc_u32_e32 v6, 31, v5
	v_add_nc_u32_e32 v3, v5, v3
	v_alignbit_b32 v0, v2, v0, v6
	s_delay_alu instid0(VALU_DEP_2) | instskip(NEXT) | instid1(VALU_DEP_2)
	v_dual_mul_f32 v3, 0x3fc90fda, v4 :: v_dual_lshlrev_b32 v2, 23, v3
	v_lshrrev_b32_e32 v0, 9, v0
	s_delay_alu instid0(VALU_DEP_2) | instskip(NEXT) | instid1(VALU_DEP_3)
	v_sub_nc_u32_e32 v2, s9, v2
	v_fma_f32 v5, 0x3fc90fda, v4, -v3
	s_lshr_b32 s9, s4, 30
	s_delay_alu instid0(SALU_CYCLE_1) | instskip(NEXT) | instid1(VALU_DEP_2)
	s_add_i32 s8, s8, s9
	v_or_b32_e32 v0, v2, v0
	s_delay_alu instid0(VALU_DEP_2) | instskip(NEXT) | instid1(VALU_DEP_1)
	v_fmamk_f32 v2, v4, 0x33a22168, v5
	v_fmac_f32_e32 v2, 0x3fc90fda, v0
	s_delay_alu instid0(VALU_DEP_1)
	v_add_f32_e32 v0, v3, v2
	v_mov_b32_e32 v2, s8
	s_cbranch_execz .LBB0_4
	s_branch .LBB0_5
.LBB0_3:
                                        ; implicit-def: $sgpr8
                                        ; implicit-def: $vgpr0
	v_mov_b32_e32 v2, s8
.LBB0_4:
	v_mul_f32_e64 v0, 0x3f22f983, |s5|
	s_delay_alu instid0(VALU_DEP_1) | instskip(NEXT) | instid1(VALU_DEP_1)
	v_rndne_f32_e32 v2, v0
	v_fma_f32 v0, 0xbfc90fda, v2, |s5|
	s_delay_alu instid0(VALU_DEP_1) | instskip(NEXT) | instid1(VALU_DEP_1)
	v_fmamk_f32 v0, v2, 0xb3a22168, v0
	v_fmamk_f32 v0, v2, 0xa7c234c4, v0
	v_cvt_i32_f32_e32 v2, v2
.LBB0_5:
	s_load_b64 s[0:1], s[0:1], 0x18
	v_mul_f32_e64 v11, s7, s7
	s_waitcnt lgkmcnt(0)
	v_mul_f32_e64 v12, s7, s2
	v_mul_f32_e64 v13, s2, s2
	v_and_b32_e32 v10, 1, v2
	v_lshlrev_b32_e32 v2, 30, v2
	s_delay_alu instid0(VALU_DEP_2) | instskip(SKIP_4) | instid1(VALU_DEP_1)
	v_cmp_eq_u32_e32 vcc_lo, 0, v10
	v_mad_i64_i32 v[6:7], null, v1, 12, s[0:1]
	v_mul_f32_e32 v1, v0, v0
	s_mov_b32 s0, 0xb94c1982
	s_mov_b32 s1, 0x37d75334
	v_fmaak_f32 v8, s0, v1, 0x3c0881c4
	global_load_b96 v[3:5], v[6:7], off
	s_xor_b32 s0, s3, s5
	v_and_b32_e32 v2, 0x80000000, v2
	v_fmaak_f32 v8, v1, v8, 0xbe2aaa9d
	s_delay_alu instid0(VALU_DEP_1) | instskip(NEXT) | instid1(VALU_DEP_1)
	v_dual_fmaak_f32 v9, s1, v1, 0xbab64f3b :: v_dual_mul_f32 v8, v1, v8
	v_dual_fmaak_f32 v9, v1, v9, 0x3d2aabf7 :: v_dual_fmac_f32 v0, v0, v8
	s_delay_alu instid0(VALU_DEP_1) | instskip(NEXT) | instid1(VALU_DEP_1)
	v_fmaak_f32 v9, v1, v9, 0xbf000004
	v_fma_f32 v1, v1, v9, 1.0
	v_mul_f32_e64 v9, s6, s2
	s_delay_alu instid0(VALU_DEP_2) | instskip(SKIP_2) | instid1(VALU_DEP_3)
	v_cndmask_b32_e32 v8, v1, v0, vcc_lo
	v_cndmask_b32_e64 v0, -v0, v1, vcc_lo
	v_cmp_class_f32_e64 vcc_lo, s5, 0x1f8
	v_xor_b32_e32 v1, s0, v8
	s_delay_alu instid0(VALU_DEP_3) | instskip(NEXT) | instid1(VALU_DEP_2)
	v_xor_b32_e32 v0, v2, v0
	v_xor_b32_e32 v1, v1, v2
	s_delay_alu instid0(VALU_DEP_2) | instskip(SKIP_2) | instid1(VALU_DEP_3)
	v_cndmask_b32_e32 v8, 0x7fc00000, v0, vcc_lo
	v_mul_f32_e64 v0, s6, s6
	v_mul_f32_e64 v2, s6, s7
	v_dual_cndmask_b32 v1, 0x7fc00000, v1 :: v_dual_sub_f32 v10, 1.0, v8
	s_delay_alu instid0(VALU_DEP_1) | instskip(SKIP_1) | instid1(VALU_DEP_3)
	v_mul_f32_e32 v14, s2, v1
	v_mul_f32_e32 v15, s6, v1
	;; [unrolled: 1-line block ×3, first 2 shown]
	v_fma_f32 v16, v0, v10, v8
	v_fma_f32 v11, v11, v10, v8
	;; [unrolled: 1-line block ×3, first 2 shown]
	v_fma_f32 v18, v12, v10, -v15
	v_fma_f32 v17, -s7, v1, v9
	v_fma_f32 v14, v2, v10, -v14
	s_waitcnt vmcnt(0)
	v_dual_fmac_f32 v9, s7, v1 :: v_dual_mul_f32 v0, v4, v0
	v_mul_f32_e32 v1, v4, v11
	v_mul_f32_e32 v2, v4, v18
	v_fma_f32 v4, v12, v10, v15
	s_delay_alu instid0(VALU_DEP_4) | instskip(NEXT) | instid1(VALU_DEP_4)
	v_fmac_f32_e32 v0, v3, v16
	v_fmac_f32_e32 v1, v3, v14
	;; [unrolled: 1-line block ×4, first 2 shown]
	s_delay_alu instid0(VALU_DEP_4) | instskip(NEXT) | instid1(VALU_DEP_4)
	v_fmac_f32_e32 v0, v5, v17
	v_fmac_f32_e32 v1, v5, v4
	s_delay_alu instid0(VALU_DEP_3)
	v_fmac_f32_e32 v2, v5, v8
	global_store_b96 v[6:7], v[0:2], off
.LBB0_6:
	s_nop 0
	s_sendmsg sendmsg(MSG_DEALLOC_VGPRS)
	s_endpgm
	.section	.rodata,"a",@progbits
	.p2align	6, 0x0
	.amdhsa_kernel _Z6rotateif15HIP_vector_typeIfLj3EEPS0_
		.amdhsa_group_segment_fixed_size 0
		.amdhsa_private_segment_fixed_size 0
		.amdhsa_kernarg_size 288
		.amdhsa_user_sgpr_count 15
		.amdhsa_user_sgpr_dispatch_ptr 0
		.amdhsa_user_sgpr_queue_ptr 0
		.amdhsa_user_sgpr_kernarg_segment_ptr 1
		.amdhsa_user_sgpr_dispatch_id 0
		.amdhsa_user_sgpr_private_segment_size 0
		.amdhsa_wavefront_size32 1
		.amdhsa_uses_dynamic_stack 0
		.amdhsa_enable_private_segment 0
		.amdhsa_system_sgpr_workgroup_id_x 1
		.amdhsa_system_sgpr_workgroup_id_y 0
		.amdhsa_system_sgpr_workgroup_id_z 0
		.amdhsa_system_sgpr_workgroup_info 0
		.amdhsa_system_vgpr_workitem_id 0
		.amdhsa_next_free_vgpr 19
		.amdhsa_next_free_sgpr 18
		.amdhsa_reserve_vcc 1
		.amdhsa_float_round_mode_32 0
		.amdhsa_float_round_mode_16_64 0
		.amdhsa_float_denorm_mode_32 3
		.amdhsa_float_denorm_mode_16_64 3
		.amdhsa_dx10_clamp 1
		.amdhsa_ieee_mode 1
		.amdhsa_fp16_overflow 0
		.amdhsa_workgroup_processor_mode 1
		.amdhsa_memory_ordered 1
		.amdhsa_forward_progress 0
		.amdhsa_shared_vgpr_count 0
		.amdhsa_exception_fp_ieee_invalid_op 0
		.amdhsa_exception_fp_denorm_src 0
		.amdhsa_exception_fp_ieee_div_zero 0
		.amdhsa_exception_fp_ieee_overflow 0
		.amdhsa_exception_fp_ieee_underflow 0
		.amdhsa_exception_fp_ieee_inexact 0
		.amdhsa_exception_int_div_zero 0
	.end_amdhsa_kernel
	.text
.Lfunc_end0:
	.size	_Z6rotateif15HIP_vector_typeIfLj3EEPS0_, .Lfunc_end0-_Z6rotateif15HIP_vector_typeIfLj3EEPS0_
                                        ; -- End function
	.section	.AMDGPU.csdata,"",@progbits
; Kernel info:
; codeLenInByte = 1236
; NumSgprs: 20
; NumVgprs: 19
; ScratchSize: 0
; MemoryBound: 0
; FloatMode: 240
; IeeeMode: 1
; LDSByteSize: 0 bytes/workgroup (compile time only)
; SGPRBlocks: 2
; VGPRBlocks: 2
; NumSGPRsForWavesPerEU: 20
; NumVGPRsForWavesPerEU: 19
; Occupancy: 16
; WaveLimiterHint : 0
; COMPUTE_PGM_RSRC2:SCRATCH_EN: 0
; COMPUTE_PGM_RSRC2:USER_SGPR: 15
; COMPUTE_PGM_RSRC2:TRAP_HANDLER: 0
; COMPUTE_PGM_RSRC2:TGID_X_EN: 1
; COMPUTE_PGM_RSRC2:TGID_Y_EN: 0
; COMPUTE_PGM_RSRC2:TGID_Z_EN: 0
; COMPUTE_PGM_RSRC2:TIDIG_COMP_CNT: 0
	.text
	.protected	_Z7rotate2if15HIP_vector_typeIfLj3EEPS_IfLj4EE ; -- Begin function _Z7rotate2if15HIP_vector_typeIfLj3EEPS_IfLj4EE
	.globl	_Z7rotate2if15HIP_vector_typeIfLj3EEPS_IfLj4EE
	.p2align	8
	.type	_Z7rotate2if15HIP_vector_typeIfLj3EEPS_IfLj4EE,@function
_Z7rotate2if15HIP_vector_typeIfLj3EEPS_IfLj4EE: ; @_Z7rotate2if15HIP_vector_typeIfLj3EEPS_IfLj4EE
; %bb.0:
	s_clause 0x1
	s_load_b32 s2, s[0:1], 0x2c
	s_load_b128 s[4:7], s[0:1], 0x0
	s_waitcnt lgkmcnt(0)
	s_and_b32 s2, s2, 0xffff
	s_delay_alu instid0(SALU_CYCLE_1) | instskip(SKIP_1) | instid1(VALU_DEP_1)
	v_mad_u64_u32 v[1:2], null, s15, s2, v[0:1]
	s_mov_b32 s2, exec_lo
	v_cmpx_gt_i32_e64 s4, v1
	s_cbranch_execz .LBB1_6
; %bb.1:
	s_load_b32 s2, s[0:1], 0x10
	v_cmp_ngt_f32_e64 s3, 0x48000000, |s5|
	s_delay_alu instid0(VALU_DEP_1)
	s_and_b32 vcc_lo, exec_lo, s3
	s_and_b32 s3, s5, 0x7fffffff
	s_cbranch_vccz .LBB1_3
; %bb.2:
	s_and_b32 s4, s3, 0x7fffff
	s_lshr_b32 s8, s3, 23
	s_bitset1_b32 s4, 23
	s_addk_i32 s8, 0xff88
	s_mul_hi_u32 s9, s4, 0xfe5163ab
	s_mul_i32 s10, s4, 0x3c439041
	s_mul_hi_u32 s11, s4, 0x3c439041
	s_add_u32 s9, s9, s10
	s_addc_u32 s10, 0, s11
	s_mul_i32 s11, s4, 0xdb629599
	s_mul_hi_u32 s12, s4, 0xdb629599
	s_add_u32 s10, s10, s11
	s_addc_u32 s11, 0, s12
	;; [unrolled: 4-line block ×5, first 2 shown]
	s_cmp_gt_u32 s8, 63
	s_mul_i32 s15, s4, 0xfe5163ab
	s_mul_hi_u32 s16, s4, 0xa2f9836e
	s_mul_i32 s4, s4, 0xa2f9836e
	s_cselect_b32 s17, s10, s12
	s_cselect_b32 s9, s9, s11
	;; [unrolled: 1-line block ×3, first 2 shown]
	s_add_u32 s4, s14, s4
	s_addc_u32 s14, 0, s16
	s_cmp_gt_u32 s8, 63
	s_cselect_b32 s15, 0xffffffc0, 0
	s_cselect_b32 s11, s11, s13
	;; [unrolled: 1-line block ×4, first 2 shown]
	s_add_i32 s15, s15, s8
	s_delay_alu instid0(SALU_CYCLE_1)
	s_cmp_gt_u32 s15, 31
	s_cselect_b32 s8, 0xffffffe0, 0
	s_cselect_b32 s13, s11, s4
	;; [unrolled: 1-line block ×6, first 2 shown]
	s_add_i32 s8, s8, s15
	s_delay_alu instid0(SALU_CYCLE_1)
	s_cmp_gt_u32 s8, 31
	s_cselect_b32 s10, 0xffffffe0, 0
	s_cselect_b32 s4, s13, s4
	;; [unrolled: 1-line block ×5, first 2 shown]
	s_add_i32 s10, s10, s8
	s_delay_alu instid0(SALU_CYCLE_1) | instskip(SKIP_3) | instid1(VALU_DEP_1)
	s_sub_i32 s8, 32, s10
	s_cmp_eq_u32 s10, 0
	v_mov_b32_e32 v0, s8
	s_cselect_b32 s10, -1, 0
	v_alignbit_b32 v2, s4, s13, v0
	v_alignbit_b32 v3, s13, s11, v0
	s_delay_alu instid0(VALU_DEP_2) | instskip(NEXT) | instid1(VALU_DEP_2)
	v_readfirstlane_b32 s8, v2
	v_cndmask_b32_e64 v2, v3, s13, s10
	s_delay_alu instid0(VALU_DEP_2)
	s_cselect_b32 s4, s4, s8
	s_delay_alu instid0(VALU_DEP_1) | instid1(SALU_CYCLE_1)
	v_alignbit_b32 v3, s4, v2, 30
	s_bfe_u32 s8, s4, 0x1001d
	s_delay_alu instid0(SALU_CYCLE_1)
	s_sub_i32 s12, 0, s8
	s_delay_alu instid0(VALU_DEP_1) | instid1(SALU_CYCLE_1)
	v_xor_b32_e32 v4, s12, v3
	v_cmp_ne_u32_e32 vcc_lo, s12, v3
	s_delay_alu instid0(VALU_DEP_2) | instskip(NEXT) | instid1(VALU_DEP_1)
	v_clz_i32_u32_e32 v5, v4
	v_add_nc_u32_e32 v5, 1, v5
	v_alignbit_b32 v0, s11, s9, v0
	s_delay_alu instid0(VALU_DEP_2) | instskip(NEXT) | instid1(VALU_DEP_2)
	v_cndmask_b32_e32 v3, 33, v5, vcc_lo
	v_cndmask_b32_e64 v0, v0, s11, s10
	s_delay_alu instid0(VALU_DEP_2) | instskip(NEXT) | instid1(VALU_DEP_2)
	v_sub_nc_u32_e32 v5, 32, v3
	v_alignbit_b32 v2, v2, v0, 30
	v_alignbit_b32 v0, v0, s9, 30
	s_lshr_b32 s9, s4, 29
	s_delay_alu instid0(SALU_CYCLE_1) | instskip(NEXT) | instid1(VALU_DEP_2)
	s_lshl_b32 s9, s9, 31
	v_xor_b32_e32 v2, s12, v2
	s_delay_alu instid0(VALU_DEP_2) | instskip(NEXT) | instid1(VALU_DEP_2)
	v_xor_b32_e32 v0, s12, v0
	v_alignbit_b32 v4, v4, v2, v5
	s_delay_alu instid0(VALU_DEP_2) | instskip(NEXT) | instid1(VALU_DEP_1)
	v_alignbit_b32 v0, v2, v0, v5
	v_alignbit_b32 v2, v4, v0, 9
	;; [unrolled: 1-line block ×3, first 2 shown]
	s_delay_alu instid0(VALU_DEP_2) | instskip(NEXT) | instid1(VALU_DEP_2)
	v_clz_i32_u32_e32 v5, v2
	v_or_b32_e32 v4, s9, v4
	s_or_b32 s9, s9, 0x33800000
	s_delay_alu instid0(VALU_DEP_2) | instskip(NEXT) | instid1(VALU_DEP_2)
	v_min_u32_e32 v5, 32, v5
	v_xor_b32_e32 v4, 1.0, v4
	s_delay_alu instid0(VALU_DEP_2) | instskip(SKIP_1) | instid1(VALU_DEP_2)
	v_sub_nc_u32_e32 v6, 31, v5
	v_add_nc_u32_e32 v3, v5, v3
	v_alignbit_b32 v0, v2, v0, v6
	s_delay_alu instid0(VALU_DEP_2) | instskip(NEXT) | instid1(VALU_DEP_2)
	v_dual_mul_f32 v3, 0x3fc90fda, v4 :: v_dual_lshlrev_b32 v2, 23, v3
	v_lshrrev_b32_e32 v0, 9, v0
	s_delay_alu instid0(VALU_DEP_2) | instskip(NEXT) | instid1(VALU_DEP_3)
	v_sub_nc_u32_e32 v2, s9, v2
	v_fma_f32 v5, 0x3fc90fda, v4, -v3
	s_lshr_b32 s9, s4, 30
	s_delay_alu instid0(SALU_CYCLE_1) | instskip(NEXT) | instid1(VALU_DEP_2)
	s_add_i32 s8, s8, s9
	v_or_b32_e32 v0, v2, v0
	s_delay_alu instid0(VALU_DEP_2) | instskip(NEXT) | instid1(VALU_DEP_1)
	v_fmamk_f32 v2, v4, 0x33a22168, v5
	v_fmac_f32_e32 v2, 0x3fc90fda, v0
	s_delay_alu instid0(VALU_DEP_1)
	v_dual_add_f32 v0, v3, v2 :: v_dual_mov_b32 v3, s8
	s_cbranch_execz .LBB1_4
	s_branch .LBB1_5
.LBB1_3:
                                        ; implicit-def: $sgpr8
                                        ; implicit-def: $vgpr0
	v_mov_b32_e32 v3, s8
.LBB1_4:
	v_mul_f32_e64 v0, 0x3f22f983, |s5|
	s_delay_alu instid0(VALU_DEP_1) | instskip(NEXT) | instid1(VALU_DEP_1)
	v_rndne_f32_e32 v2, v0
	v_fma_f32 v0, 0xbfc90fda, v2, |s5|
	v_cvt_i32_f32_e32 v3, v2
	s_delay_alu instid0(VALU_DEP_2) | instskip(NEXT) | instid1(VALU_DEP_1)
	v_fmamk_f32 v0, v2, 0xb3a22168, v0
	v_fmamk_f32 v0, v2, 0xa7c234c4, v0
.LBB1_5:
	s_load_b64 s[0:1], s[0:1], 0x18
	v_ashrrev_i32_e32 v2, 31, v1
	s_waitcnt lgkmcnt(0)
	v_mul_f32_e64 v12, s7, s2
	v_mul_f32_e64 v11, s7, s7
	v_mul_f32_e64 v13, s2, s2
	v_and_b32_e32 v10, 1, v3
	v_lshlrev_b64 v[1:2], 4, v[1:2]
	s_delay_alu instid0(VALU_DEP_1) | instskip(NEXT) | instid1(VALU_DEP_2)
	v_add_co_u32 v7, vcc_lo, s0, v1
	v_add_co_ci_u32_e32 v8, vcc_lo, s1, v2, vcc_lo
	v_mul_f32_e32 v1, v0, v0
	s_mov_b32 s0, 0xb94c1982
	s_mov_b32 s1, 0x37d75334
	global_load_b96 v[4:6], v[7:8], off
	v_cmp_eq_u32_e32 vcc_lo, 0, v10
	v_fmaak_f32 v2, s0, v1, 0x3c0881c4
	s_xor_b32 s0, s3, s5
	s_delay_alu instid0(VALU_DEP_1) | instskip(NEXT) | instid1(VALU_DEP_1)
	v_fmaak_f32 v2, v1, v2, 0xbe2aaa9d
	v_dual_fmaak_f32 v9, s1, v1, 0xbab64f3b :: v_dual_mul_f32 v2, v1, v2
	s_delay_alu instid0(VALU_DEP_1) | instskip(NEXT) | instid1(VALU_DEP_1)
	v_dual_fmaak_f32 v9, v1, v9, 0x3d2aabf7 :: v_dual_fmac_f32 v0, v0, v2
	v_dual_fmaak_f32 v9, v1, v9, 0xbf000004 :: v_dual_lshlrev_b32 v2, 30, v3
	s_delay_alu instid0(VALU_DEP_1) | instskip(NEXT) | instid1(VALU_DEP_2)
	v_fma_f32 v1, v1, v9, 1.0
	v_and_b32_e32 v2, 0x80000000, v2
	v_mul_f32_e64 v9, s6, s2
	s_delay_alu instid0(VALU_DEP_3) | instskip(SKIP_2) | instid1(VALU_DEP_3)
	v_cndmask_b32_e32 v3, v1, v0, vcc_lo
	v_cndmask_b32_e64 v0, -v0, v1, vcc_lo
	v_cmp_class_f32_e64 vcc_lo, s5, 0x1f8
	v_xor_b32_e32 v1, s0, v3
	s_delay_alu instid0(VALU_DEP_3) | instskip(NEXT) | instid1(VALU_DEP_2)
	v_xor_b32_e32 v0, v2, v0
	v_xor_b32_e32 v1, v1, v2
	s_delay_alu instid0(VALU_DEP_2) | instskip(SKIP_2) | instid1(VALU_DEP_3)
	v_cndmask_b32_e32 v3, 0x7fc00000, v0, vcc_lo
	v_mul_f32_e64 v0, s6, s6
	v_mul_f32_e64 v2, s6, s7
	v_dual_cndmask_b32 v1, 0x7fc00000, v1 :: v_dual_sub_f32 v10, 1.0, v3
	s_delay_alu instid0(VALU_DEP_1) | instskip(NEXT) | instid1(VALU_DEP_2)
	v_mul_f32_e32 v15, s6, v1
	v_dual_mul_f32 v14, s2, v1 :: v_dual_mul_f32 v9, v9, v10
	v_fma_f32 v16, v0, v10, v3
	s_delay_alu instid0(VALU_DEP_3) | instskip(NEXT) | instid1(VALU_DEP_3)
	v_fma_f32 v18, v12, v10, -v15
	v_fma_f32 v0, v2, v10, v14
	v_fma_f32 v14, v2, v10, -v14
	v_fma_f32 v17, -s7, v1, v9
	s_waitcnt vmcnt(0)
	s_delay_alu instid0(VALU_DEP_3) | instskip(SKIP_2) | instid1(VALU_DEP_3)
	v_dual_fmac_f32 v9, s7, v1 :: v_dual_mul_f32 v0, v5, v0
	v_mul_f32_e32 v2, v5, v18
	v_fma_f32 v11, v11, v10, v3
	v_dual_fmac_f32 v3, v13, v10 :: v_dual_fmac_f32 v0, v4, v16
	s_delay_alu instid0(VALU_DEP_2) | instskip(SKIP_1) | instid1(VALU_DEP_3)
	v_dual_fmac_f32 v2, v4, v9 :: v_dual_mul_f32 v1, v5, v11
	v_fma_f32 v5, v12, v10, v15
	v_fmac_f32_e32 v0, v6, v17
	s_delay_alu instid0(VALU_DEP_3) | instskip(NEXT) | instid1(VALU_DEP_4)
	v_dual_fmac_f32 v2, v6, v3 :: v_dual_mov_b32 v3, 0
	v_fmac_f32_e32 v1, v4, v14
	s_delay_alu instid0(VALU_DEP_1)
	v_fmac_f32_e32 v1, v6, v5
	global_store_b128 v[7:8], v[0:3], off
.LBB1_6:
	s_nop 0
	s_sendmsg sendmsg(MSG_DEALLOC_VGPRS)
	s_endpgm
	.section	.rodata,"a",@progbits
	.p2align	6, 0x0
	.amdhsa_kernel _Z7rotate2if15HIP_vector_typeIfLj3EEPS_IfLj4EE
		.amdhsa_group_segment_fixed_size 0
		.amdhsa_private_segment_fixed_size 0
		.amdhsa_kernarg_size 288
		.amdhsa_user_sgpr_count 15
		.amdhsa_user_sgpr_dispatch_ptr 0
		.amdhsa_user_sgpr_queue_ptr 0
		.amdhsa_user_sgpr_kernarg_segment_ptr 1
		.amdhsa_user_sgpr_dispatch_id 0
		.amdhsa_user_sgpr_private_segment_size 0
		.amdhsa_wavefront_size32 1
		.amdhsa_uses_dynamic_stack 0
		.amdhsa_enable_private_segment 0
		.amdhsa_system_sgpr_workgroup_id_x 1
		.amdhsa_system_sgpr_workgroup_id_y 0
		.amdhsa_system_sgpr_workgroup_id_z 0
		.amdhsa_system_sgpr_workgroup_info 0
		.amdhsa_system_vgpr_workitem_id 0
		.amdhsa_next_free_vgpr 19
		.amdhsa_next_free_sgpr 18
		.amdhsa_reserve_vcc 1
		.amdhsa_float_round_mode_32 0
		.amdhsa_float_round_mode_16_64 0
		.amdhsa_float_denorm_mode_32 3
		.amdhsa_float_denorm_mode_16_64 3
		.amdhsa_dx10_clamp 1
		.amdhsa_ieee_mode 1
		.amdhsa_fp16_overflow 0
		.amdhsa_workgroup_processor_mode 1
		.amdhsa_memory_ordered 1
		.amdhsa_forward_progress 0
		.amdhsa_shared_vgpr_count 0
		.amdhsa_exception_fp_ieee_invalid_op 0
		.amdhsa_exception_fp_denorm_src 0
		.amdhsa_exception_fp_ieee_div_zero 0
		.amdhsa_exception_fp_ieee_overflow 0
		.amdhsa_exception_fp_ieee_underflow 0
		.amdhsa_exception_fp_ieee_inexact 0
		.amdhsa_exception_int_div_zero 0
	.end_amdhsa_kernel
	.text
.Lfunc_end1:
	.size	_Z7rotate2if15HIP_vector_typeIfLj3EEPS_IfLj4EE, .Lfunc_end1-_Z7rotate2if15HIP_vector_typeIfLj3EEPS_IfLj4EE
                                        ; -- End function
	.section	.AMDGPU.csdata,"",@progbits
; Kernel info:
; codeLenInByte = 1268
; NumSgprs: 20
; NumVgprs: 19
; ScratchSize: 0
; MemoryBound: 0
; FloatMode: 240
; IeeeMode: 1
; LDSByteSize: 0 bytes/workgroup (compile time only)
; SGPRBlocks: 2
; VGPRBlocks: 2
; NumSGPRsForWavesPerEU: 20
; NumVGPRsForWavesPerEU: 19
; Occupancy: 16
; WaveLimiterHint : 0
; COMPUTE_PGM_RSRC2:SCRATCH_EN: 0
; COMPUTE_PGM_RSRC2:USER_SGPR: 15
; COMPUTE_PGM_RSRC2:TRAP_HANDLER: 0
; COMPUTE_PGM_RSRC2:TGID_X_EN: 1
; COMPUTE_PGM_RSRC2:TGID_Y_EN: 0
; COMPUTE_PGM_RSRC2:TGID_Z_EN: 0
; COMPUTE_PGM_RSRC2:TIDIG_COMP_CNT: 0
	.text
	.p2alignl 7, 3214868480
	.fill 96, 4, 3214868480
	.type	__hip_cuid_9d6d793afd0f49aa,@object ; @__hip_cuid_9d6d793afd0f49aa
	.section	.bss,"aw",@nobits
	.globl	__hip_cuid_9d6d793afd0f49aa
__hip_cuid_9d6d793afd0f49aa:
	.byte	0                               ; 0x0
	.size	__hip_cuid_9d6d793afd0f49aa, 1

	.ident	"AMD clang version 19.0.0git (https://github.com/RadeonOpenCompute/llvm-project roc-6.4.0 25133 c7fe45cf4b819c5991fe208aaa96edf142730f1d)"
	.section	".note.GNU-stack","",@progbits
	.addrsig
	.addrsig_sym __hip_cuid_9d6d793afd0f49aa
	.amdgpu_metadata
---
amdhsa.kernels:
  - .args:
      - .offset:         0
        .size:           4
        .value_kind:     by_value
      - .offset:         4
        .size:           4
        .value_kind:     by_value
      - .offset:         8
        .size:           12
        .value_kind:     by_value
      - .address_space:  global
        .offset:         24
        .size:           8
        .value_kind:     global_buffer
      - .offset:         32
        .size:           4
        .value_kind:     hidden_block_count_x
      - .offset:         36
        .size:           4
        .value_kind:     hidden_block_count_y
      - .offset:         40
        .size:           4
        .value_kind:     hidden_block_count_z
      - .offset:         44
        .size:           2
        .value_kind:     hidden_group_size_x
      - .offset:         46
        .size:           2
        .value_kind:     hidden_group_size_y
      - .offset:         48
        .size:           2
        .value_kind:     hidden_group_size_z
      - .offset:         50
        .size:           2
        .value_kind:     hidden_remainder_x
      - .offset:         52
        .size:           2
        .value_kind:     hidden_remainder_y
      - .offset:         54
        .size:           2
        .value_kind:     hidden_remainder_z
      - .offset:         72
        .size:           8
        .value_kind:     hidden_global_offset_x
      - .offset:         80
        .size:           8
        .value_kind:     hidden_global_offset_y
      - .offset:         88
        .size:           8
        .value_kind:     hidden_global_offset_z
      - .offset:         96
        .size:           2
        .value_kind:     hidden_grid_dims
    .group_segment_fixed_size: 0
    .kernarg_segment_align: 8
    .kernarg_segment_size: 288
    .language:       OpenCL C
    .language_version:
      - 2
      - 0
    .max_flat_workgroup_size: 1024
    .name:           _Z6rotateif15HIP_vector_typeIfLj3EEPS0_
    .private_segment_fixed_size: 0
    .sgpr_count:     20
    .sgpr_spill_count: 0
    .symbol:         _Z6rotateif15HIP_vector_typeIfLj3EEPS0_.kd
    .uniform_work_group_size: 1
    .uses_dynamic_stack: false
    .vgpr_count:     19
    .vgpr_spill_count: 0
    .wavefront_size: 32
    .workgroup_processor_mode: 1
  - .args:
      - .offset:         0
        .size:           4
        .value_kind:     by_value
      - .offset:         4
        .size:           4
        .value_kind:     by_value
      - .offset:         8
        .size:           12
        .value_kind:     by_value
      - .address_space:  global
        .offset:         24
        .size:           8
        .value_kind:     global_buffer
      - .offset:         32
        .size:           4
        .value_kind:     hidden_block_count_x
      - .offset:         36
        .size:           4
        .value_kind:     hidden_block_count_y
      - .offset:         40
        .size:           4
        .value_kind:     hidden_block_count_z
      - .offset:         44
        .size:           2
        .value_kind:     hidden_group_size_x
      - .offset:         46
        .size:           2
        .value_kind:     hidden_group_size_y
      - .offset:         48
        .size:           2
        .value_kind:     hidden_group_size_z
      - .offset:         50
        .size:           2
        .value_kind:     hidden_remainder_x
      - .offset:         52
        .size:           2
        .value_kind:     hidden_remainder_y
      - .offset:         54
        .size:           2
        .value_kind:     hidden_remainder_z
      - .offset:         72
        .size:           8
        .value_kind:     hidden_global_offset_x
      - .offset:         80
        .size:           8
        .value_kind:     hidden_global_offset_y
      - .offset:         88
        .size:           8
        .value_kind:     hidden_global_offset_z
      - .offset:         96
        .size:           2
        .value_kind:     hidden_grid_dims
    .group_segment_fixed_size: 0
    .kernarg_segment_align: 8
    .kernarg_segment_size: 288
    .language:       OpenCL C
    .language_version:
      - 2
      - 0
    .max_flat_workgroup_size: 1024
    .name:           _Z7rotate2if15HIP_vector_typeIfLj3EEPS_IfLj4EE
    .private_segment_fixed_size: 0
    .sgpr_count:     20
    .sgpr_spill_count: 0
    .symbol:         _Z7rotate2if15HIP_vector_typeIfLj3EEPS_IfLj4EE.kd
    .uniform_work_group_size: 1
    .uses_dynamic_stack: false
    .vgpr_count:     19
    .vgpr_spill_count: 0
    .wavefront_size: 32
    .workgroup_processor_mode: 1
amdhsa.target:   amdgcn-amd-amdhsa--gfx1100
amdhsa.version:
  - 1
  - 2
...

	.end_amdgpu_metadata
